;; amdgpu-corpus repo=zjin-lcf/HeCBench kind=compiled arch=gfx1030 opt=O3
	.amdgcn_target "amdgcn-amd-amdhsa--gfx1030"
	.amdhsa_code_object_version 6
	.section	.text._Z9minkowskiILi512ELi1024ELi2048EEvPKfS1_Pfff,"axG",@progbits,_Z9minkowskiILi512ELi1024ELi2048EEvPKfS1_Pfff,comdat
	.protected	_Z9minkowskiILi512ELi1024ELi2048EEvPKfS1_Pfff ; -- Begin function _Z9minkowskiILi512ELi1024ELi2048EEvPKfS1_Pfff
	.globl	_Z9minkowskiILi512ELi1024ELi2048EEvPKfS1_Pfff
	.p2align	8
	.type	_Z9minkowskiILi512ELi1024ELi2048EEvPKfS1_Pfff,@function
_Z9minkowskiILi512ELi1024ELi2048EEvPKfS1_Pfff: ; @_Z9minkowskiILi512ELi1024ELi2048EEvPKfS1_Pfff
; %bb.0:
	s_load_dword s0, s[4:5], 0x2c
	s_waitcnt lgkmcnt(0)
	s_lshr_b32 s1, s0, 16
	s_and_b32 s0, s0, 0xffff
	v_mad_u64_u32 v[2:3], null, s6, s0, v[0:1]
	v_mad_u64_u32 v[0:1], null, s7, s1, v[1:2]
	v_cmp_gt_i32_e32 vcc_lo, 0x800, v2
	v_cmp_gt_i32_e64 s0, 0x200, v0
	s_and_b32 s0, vcc_lo, s0
	s_and_saveexec_b32 s1, s0
	s_cbranch_execz .LBB0_4
; %bb.1:
	s_load_dwordx8 s[0:7], s[4:5], 0x0
	v_lshlrev_b32_e32 v3, 10, v0
	v_mov_b32_e32 v1, 0
	s_mov_b64 s[8:9], 0
	s_mov_b32 s10, 0x3e76c4e1
	v_ashrrev_i32_e32 v4, 31, v3
	v_lshlrev_b64 v[3:4], 2, v[3:4]
	s_waitcnt lgkmcnt(0)
	v_add_co_u32 v5, vcc_lo, s0, v3
	v_add_co_ci_u32_e64 v6, null, s1, v4, vcc_lo
	v_mov_b32_e32 v3, v2
.LBB0_2:                                ; =>This Inner Loop Header: Depth=1
	v_ashrrev_i32_e32 v4, 31, v3
	v_add_co_u32 v7, vcc_lo, v5, s8
	v_add_co_ci_u32_e64 v8, null, s9, v6, vcc_lo
	v_lshlrev_b64 v[9:10], 2, v[3:4]
	v_add_nc_u32_e32 v3, 0x800, v3
	global_load_dword v4, v[7:8], off
	v_add_co_u32 v7, vcc_lo, s2, v9
	v_add_co_ci_u32_e64 v8, null, s3, v10, vcc_lo
	global_load_dword v7, v[7:8], off
	s_waitcnt vmcnt(0)
	v_sub_f32_e32 v4, v4, v7
	v_cmp_neq_f32_e64 s0, |v4|, 1.0
	v_cndmask_b32_e64 v9, 1.0, s6, s0
	v_cmp_neq_f32_e32 vcc_lo, 0, v9
	v_cmp_neq_f32_e64 s1, v9, |v9|
	v_cndmask_b32_e64 v4, 1.0, |v4|, vcc_lo
	v_frexp_mant_f32_e32 v10, v4
	v_cvt_f64_f32_e32 v[7:8], v4
	v_cmp_gt_f32_e32 vcc_lo, 0x3f2aaaab, v10
	v_cndmask_b32_e64 v11, 1.0, 2.0, vcc_lo
	v_mul_f32_e32 v10, v10, v11
	v_add_f32_e32 v11, 1.0, v10
	v_add_f32_e32 v12, -1.0, v10
	v_frexp_exp_i32_f64_e32 v7, v[7:8]
	v_rcp_f32_e32 v13, v11
	v_add_f32_e32 v14, -1.0, v11
	v_sub_f32_e32 v8, v10, v14
	v_mul_f32_e32 v10, v12, v13
	v_mul_f32_e32 v14, v11, v10
	v_subrev_co_ci_u32_e64 v7, null, 0, v7, vcc_lo
	v_fma_f32 v11, v10, v11, -v14
	v_cvt_f32_i32_e32 v7, v7
	v_fmac_f32_e32 v11, v10, v8
	v_mul_f32_e32 v15, 0x3f317218, v7
	v_add_f32_e32 v8, v14, v11
	v_fma_f32 v17, 0x3f317218, v7, -v15
	v_sub_f32_e32 v16, v12, v8
	v_sub_f32_e32 v14, v8, v14
	v_fmac_f32_e32 v17, 0xb102e308, v7
	v_sub_f32_e32 v12, v12, v16
	v_sub_f32_e32 v11, v14, v11
	;; [unrolled: 1-line block ×3, first 2 shown]
	v_add_f32_e32 v7, v11, v7
	v_add_f32_e32 v7, v16, v7
	v_mul_f32_e32 v7, v13, v7
	v_add_f32_e32 v8, v10, v7
	v_sub_f32_e32 v10, v8, v10
	v_mul_f32_e32 v11, v8, v8
	v_ldexp_f32 v12, v8, 1
	v_sub_f32_e32 v7, v7, v10
	v_fma_f32 v10, v8, v8, -v11
	v_add_f32_e32 v13, v7, v7
	v_ldexp_f32 v14, v7, 1
	v_fmac_f32_e32 v10, v8, v13
	v_add_f32_e32 v13, v11, v10
	v_fmaak_f32 v16, s10, v13, 0x3e91f4c4
	v_sub_f32_e32 v11, v13, v11
	v_mul_f32_e32 v18, v8, v13
	v_fmaak_f32 v16, v13, v16, 0x3ecccdef
	v_sub_f32_e32 v10, v10, v11
	v_fma_f32 v11, v13, v8, -v18
	v_mul_f32_e32 v19, v13, v16
	v_fmac_f32_e32 v11, v13, v7
	v_fma_f32 v7, v13, v16, -v19
	v_fmac_f32_e32 v11, v10, v8
	v_fmac_f32_e32 v7, v10, v16
	v_add_f32_e32 v8, v18, v11
	v_add_f32_e32 v10, v19, v7
	v_sub_f32_e32 v13, v8, v18
	v_sub_f32_e32 v16, v10, v19
	v_add_f32_e32 v18, 0x3f2aaaaa, v10
	v_sub_f32_e32 v11, v11, v13
	v_sub_f32_e32 v7, v7, v16
	v_add_f32_e32 v13, 0xbf2aaaaa, v18
	v_add_f32_e32 v7, 0x31739010, v7
	v_sub_f32_e32 v10, v10, v13
	v_add_f32_e32 v7, v7, v10
	v_add_f32_e32 v10, v18, v7
	v_sub_f32_e32 v13, v18, v10
	v_mul_f32_e32 v16, v8, v10
	v_add_f32_e32 v7, v7, v13
	v_fma_f32 v13, v8, v10, -v16
	v_fmac_f32_e32 v13, v8, v7
	v_fmac_f32_e32 v13, v11, v10
	v_add_f32_e32 v7, v16, v13
	v_add_f32_e32 v8, v12, v7
	v_sub_f32_e32 v10, v7, v16
	v_sub_f32_e32 v11, v8, v12
	;; [unrolled: 1-line block ×4, first 2 shown]
	v_add_f32_e32 v10, v14, v10
	v_add_f32_e32 v11, v15, v17
	;; [unrolled: 1-line block ×3, first 2 shown]
	v_sub_f32_e32 v10, v11, v15
	v_add_f32_e32 v12, v8, v7
	v_sub_f32_e32 v10, v17, v10
	v_add_f32_e32 v13, v11, v12
	v_sub_f32_e32 v8, v12, v8
	v_sub_f32_e32 v14, v13, v11
	;; [unrolled: 1-line block ×5, first 2 shown]
	v_add_f32_e32 v14, v10, v7
	v_sub_f32_e32 v8, v11, v8
	v_sub_f32_e32 v11, v14, v10
	v_add_f32_e32 v8, v12, v8
	v_sub_f32_e32 v12, v14, v11
	v_sub_f32_e32 v7, v7, v11
	v_add_f32_e32 v8, v14, v8
	v_sub_f32_e32 v10, v10, v12
	v_add_f32_e32 v11, v13, v8
	v_add_f32_e32 v7, v7, v10
	v_sub_f32_e32 v12, v11, v13
	v_sub_f32_e32 v8, v8, v12
	v_add_f32_e32 v7, v7, v8
	v_add_f32_e32 v8, v11, v7
	v_sub_f32_e32 v10, v8, v11
	v_mul_f32_e32 v11, v9, v8
	v_sub_f32_e32 v7, v7, v10
	v_fma_f32 v8, v9, v8, -v11
	v_cmp_class_f32_e64 vcc_lo, v11, 0x204
	v_fmac_f32_e32 v8, v9, v7
	v_add_f32_e32 v7, v11, v8
	v_cndmask_b32_e32 v10, v7, v11, vcc_lo
	v_sub_f32_e32 v7, v7, v11
	v_cmp_eq_f32_e32 vcc_lo, 0x42b17218, v10
	v_sub_f32_e32 v7, v8, v7
	v_cndmask_b32_e64 v12, 0, 0x37000000, vcc_lo
	v_cmp_neq_f32_e64 vcc_lo, 0x7f800000, |v10|
	v_sub_f32_e32 v13, v10, v12
	v_cndmask_b32_e32 v7, 0, v7, vcc_lo
	v_mul_f32_e32 v14, 0x3fb8aa3b, v13
	v_cmp_ngt_f32_e32 vcc_lo, 0xc2ce8ed0, v13
	v_cmp_nlt_f32_e64 s0, 0x42b17218, v13
	v_add_f32_e32 v7, v12, v7
	v_fma_f32 v15, 0x3fb8aa3b, v13, -v14
	v_rndne_f32_e32 v16, v14
	v_fmac_f32_e32 v15, 0x32a5705f, v13
	v_sub_f32_e32 v14, v14, v16
	v_cvt_i32_f32_e32 v11, v16
	v_add_f32_e32 v14, v14, v15
	v_exp_f32_e32 v14, v14
	v_ldexp_f32 v8, v14, v11
	v_cndmask_b32_e32 v8, 0, v8, vcc_lo
	v_cmp_gt_f32_e32 vcc_lo, 1.0, v4
	v_cndmask_b32_e64 v8, 0x7f800000, v8, s0
	s_xor_b32 s1, s1, vcc_lo
	v_cmp_gt_f32_e64 s0, 0, v9
	v_cndmask_b32_e64 v10, 0x7f800000, 0, s1
	v_cmp_neq_f32_e64 s1, 1.0, v4
	v_cmp_eq_f32_e32 vcc_lo, 0, v4
	v_fma_f32 v7, v8, v7, v8
	v_cndmask_b32_e64 v10, 1.0, v10, s1
	v_cmp_class_f32_e64 s1, v8, 0x204
	s_xor_b32 s0, s0, vcc_lo
	v_cndmask_b32_e64 v7, v7, v8, s1
	v_cndmask_b32_e64 v8, 0x7f800000, 0, s0
	v_cmp_class_f32_e64 s0, v9, 0x204
	v_cmp_eq_f32_e64 s1, 0x7f800000, v4
	v_cndmask_b32_e64 v7, |v7|, v10, s0
	s_or_b32 vcc_lo, vcc_lo, s1
	s_add_u32 s8, s8, 4
	s_addc_u32 s9, s9, 0
	s_cmpk_eq_i32 s8, 0x1000
	v_cndmask_b32_e32 v7, v7, v8, vcc_lo
	v_cmp_o_f32_e32 vcc_lo, v4, v9
	v_cndmask_b32_e32 v4, 0x7fc00000, v7, vcc_lo
	v_add_f32_e32 v1, v1, v4
	s_cbranch_scc0 .LBB0_2
; %bb.3:
	v_cmp_neq_f32_e32 vcc_lo, 1.0, v1
	s_mov_b32 s0, 0x3e76c4e1
	v_lshl_add_u32 v0, v0, 11, v2
	v_cndmask_b32_e64 v3, 1.0, s7, vcc_lo
	v_cmp_neq_f32_e32 vcc_lo, 0, v3
	v_cmp_neq_f32_e64 s3, v3, |v3|
	v_cndmask_b32_e32 v6, 1.0, v1, vcc_lo
	v_frexp_mant_f32_e64 v1, |v6|
	v_cmp_lt_f32_e64 s6, |v6|, 1.0
	v_cmp_eq_f32_e64 s2, 0, v6
	v_cmp_gt_f32_e32 vcc_lo, 0x3f2aaaab, v1
	s_xor_b32 s3, s3, s6
	v_cndmask_b32_e64 v4, 1.0, 2.0, vcc_lo
	v_mul_f32_e32 v1, v1, v4
	v_add_f32_e32 v4, 1.0, v1
	v_add_f32_e32 v7, -1.0, v1
	v_rcp_f32_e32 v5, v4
	v_add_f32_e32 v9, -1.0, v4
	v_sub_f32_e32 v1, v1, v9
	v_mul_f32_e32 v8, v7, v5
	v_mul_f32_e32 v10, v4, v8
	v_fma_f32 v4, v8, v4, -v10
	v_fmac_f32_e32 v4, v8, v1
	v_add_f32_e32 v1, v10, v4
	v_sub_f32_e32 v9, v7, v1
	v_sub_f32_e32 v10, v1, v10
	;; [unrolled: 1-line block ×5, first 2 shown]
	v_add_f32_e32 v1, v4, v1
	v_add_f32_e32 v1, v9, v1
	v_mul_f32_e32 v1, v5, v1
	v_add_f32_e32 v7, v8, v1
	v_sub_f32_e32 v4, v7, v8
	v_mul_f32_e32 v5, v7, v7
	v_sub_f32_e32 v1, v1, v4
	v_fma_f32 v4, v7, v7, -v5
	v_add_f32_e32 v8, v1, v1
	v_fmac_f32_e32 v4, v7, v8
	v_add_f32_e32 v8, v5, v4
	v_fmaak_f32 v9, s0, v8, 0x3e91f4c4
	v_sub_f32_e32 v5, v8, v5
	v_mul_f32_e32 v14, v7, v8
	v_fmaak_f32 v9, v8, v9, 0x3ecccdef
	v_sub_f32_e32 v11, v4, v5
	v_cvt_f64_f32_e64 v[4:5], |v6|
	v_fma_f32 v15, v8, v7, -v14
	v_mul_f32_e32 v10, v8, v9
	v_fmac_f32_e32 v15, v8, v1
	v_ldexp_f32 v1, v1, 1
	v_fma_f32 v12, v8, v9, -v10
	v_fmac_f32_e32 v15, v11, v7
	v_fmac_f32_e32 v12, v11, v9
	v_add_f32_e32 v9, v10, v12
	v_frexp_exp_i32_f64_e32 v4, v[4:5]
	v_sub_f32_e32 v10, v9, v10
	v_add_f32_e32 v13, 0x3f2aaaaa, v9
	v_sub_f32_e32 v10, v12, v10
	v_add_f32_e32 v12, 0xbf2aaaaa, v13
	v_add_f32_e32 v10, 0x31739010, v10
	v_sub_f32_e32 v9, v9, v12
	v_add_f32_e32 v8, v10, v9
	v_add_f32_e32 v10, v14, v15
	v_subrev_co_ci_u32_e64 v4, null, 0, v4, vcc_lo
	v_add_f32_e32 v9, v13, v8
	v_sub_f32_e32 v12, v10, v14
	v_cvt_f32_i32_e32 v4, v4
	v_sub_f32_e32 v5, v13, v9
	v_mul_f32_e32 v11, v10, v9
	v_sub_f32_e32 v12, v15, v12
	v_add_f32_e32 v5, v8, v5
	v_fma_f32 v8, v10, v9, -v11
	v_fmac_f32_e32 v8, v10, v5
	v_ldexp_f32 v5, v7, 1
	v_fmac_f32_e32 v8, v12, v9
	v_add_f32_e32 v7, v11, v8
	v_add_f32_e32 v9, v5, v7
	v_sub_f32_e32 v10, v7, v11
	v_mul_f32_e32 v11, 0x3f317218, v4
	v_sub_f32_e32 v5, v9, v5
	v_sub_f32_e32 v8, v8, v10
	v_fma_f32 v10, 0x3f317218, v4, -v11
	v_sub_f32_e32 v5, v7, v5
	v_add_f32_e32 v1, v1, v8
	v_fmamk_f32 v4, v4, 0xb102e308, v10
	v_add_f32_e32 v1, v1, v5
	v_add_f32_e32 v5, v11, v4
	;; [unrolled: 1-line block ×3, first 2 shown]
	v_sub_f32_e32 v11, v5, v11
	v_add_f32_e32 v8, v5, v7
	v_sub_f32_e32 v9, v7, v9
	v_sub_f32_e32 v4, v4, v11
	;; [unrolled: 1-line block ×6, first 2 shown]
	v_add_f32_e32 v9, v4, v1
	v_sub_f32_e32 v5, v5, v12
	v_add_f32_e32 v5, v7, v5
	v_sub_f32_e32 v7, v9, v4
	;; [unrolled: 2-line block ×3, first 2 shown]
	v_sub_f32_e32 v1, v1, v7
	v_add_f32_e32 v10, v8, v5
	v_sub_f32_e32 v4, v4, v9
	v_sub_f32_e32 v7, v10, v8
	v_add_f32_e32 v1, v1, v4
	v_sub_f32_e32 v4, v5, v7
	v_add_f32_e32 v1, v1, v4
	v_add_f32_e32 v4, v10, v1
	v_sub_f32_e32 v5, v4, v10
	v_mul_f32_e32 v7, v3, v4
	v_sub_f32_e32 v1, v1, v5
	v_fma_f32 v4, v3, v4, -v7
	v_cmp_class_f32_e64 vcc_lo, v7, 0x204
	v_fmac_f32_e32 v4, v3, v1
	v_add_f32_e32 v1, v7, v4
	v_cndmask_b32_e32 v5, v1, v7, vcc_lo
	v_sub_f32_e32 v1, v1, v7
	v_cmp_eq_f32_e32 vcc_lo, 0x42b17218, v5
	v_sub_f32_e32 v1, v4, v1
	v_cndmask_b32_e64 v8, 0, 0x37000000, vcc_lo
	v_cmp_neq_f32_e64 vcc_lo, 0x7f800000, |v5|
	v_sub_f32_e32 v9, v5, v8
	v_cndmask_b32_e32 v1, 0, v1, vcc_lo
	v_trunc_f32_e32 v5, v3
	v_mul_f32_e32 v10, 0x3fb8aa3b, v9
	v_cmp_ngt_f32_e32 vcc_lo, 0xc2ce8ed0, v9
	v_add_f32_e32 v1, v8, v1
	v_fma_f32 v11, 0x3fb8aa3b, v9, -v10
	v_rndne_f32_e32 v12, v10
	v_fmamk_f32 v11, v9, 0x32a5705f, v11
	v_sub_f32_e32 v10, v10, v12
	v_cvt_i32_f32_e32 v7, v12
	v_add_f32_e32 v10, v10, v11
	v_exp_f32_e32 v10, v10
	v_ldexp_f32 v4, v10, v7
	v_mul_f32_e32 v7, 0.5, v3
	v_cndmask_b32_e32 v4, 0, v4, vcc_lo
	v_cmp_nlt_f32_e32 vcc_lo, 0x42b17218, v9
	v_trunc_f32_e32 v10, v7
	v_cndmask_b32_e32 v4, 0x7f800000, v4, vcc_lo
	v_cmp_eq_f32_e32 vcc_lo, v5, v3
	v_cmp_neq_f32_e64 s0, v10, v7
	v_fma_f32 v1, v4, v1, v4
	v_cmp_class_f32_e64 s1, v4, 0x204
	s_and_b32 s0, vcc_lo, s0
	v_cndmask_b32_e64 v5, 1.0, v6, s0
	v_cndmask_b32_e64 v8, 0, v6, s0
	v_cndmask_b32_e64 v1, v1, v4, s1
	;; [unrolled: 1-line block ×3, first 2 shown]
	v_cmp_gt_f32_e64 s1, 0, v3
	v_cmp_class_f32_e64 s0, v6, 0x204
	v_bfi_b32 v1, 0x7fffffff, v1, v5
	s_xor_b32 s1, s1, s2
	v_cndmask_b32_e64 v5, 0x7f800000, 0, s1
	v_cndmask_b32_e32 v7, 0x7fc00000, v1, vcc_lo
	v_cmp_neq_f32_e64 vcc_lo, |v6|, 1.0
	v_bfi_b32 v2, 0x7fffffff, v5, v8
	v_cndmask_b32_e32 v4, 1.0, v4, vcc_lo
	v_cmp_gt_f32_e32 vcc_lo, 0, v6
	v_cndmask_b32_e32 v1, v1, v7, vcc_lo
	v_cmp_class_f32_e64 vcc_lo, v3, 0x204
	v_cndmask_b32_e32 v4, v1, v4, vcc_lo
	v_ashrrev_i32_e32 v1, 31, v0
	s_or_b32 vcc_lo, s2, s0
	v_cndmask_b32_e32 v2, v4, v2, vcc_lo
	v_lshlrev_b64 v[0:1], 2, v[0:1]
	v_cmp_o_f32_e32 vcc_lo, v6, v3
	v_cndmask_b32_e32 v2, 0x7fc00000, v2, vcc_lo
	v_add_co_u32 v0, vcc_lo, s4, v0
	v_add_co_ci_u32_e64 v1, null, s5, v1, vcc_lo
	global_store_dword v[0:1], v2, off
.LBB0_4:
	s_endpgm
	.section	.rodata,"a",@progbits
	.p2align	6, 0x0
	.amdhsa_kernel _Z9minkowskiILi512ELi1024ELi2048EEvPKfS1_Pfff
		.amdhsa_group_segment_fixed_size 0
		.amdhsa_private_segment_fixed_size 0
		.amdhsa_kernarg_size 288
		.amdhsa_user_sgpr_count 6
		.amdhsa_user_sgpr_private_segment_buffer 1
		.amdhsa_user_sgpr_dispatch_ptr 0
		.amdhsa_user_sgpr_queue_ptr 0
		.amdhsa_user_sgpr_kernarg_segment_ptr 1
		.amdhsa_user_sgpr_dispatch_id 0
		.amdhsa_user_sgpr_flat_scratch_init 0
		.amdhsa_user_sgpr_private_segment_size 0
		.amdhsa_wavefront_size32 1
		.amdhsa_uses_dynamic_stack 0
		.amdhsa_system_sgpr_private_segment_wavefront_offset 0
		.amdhsa_system_sgpr_workgroup_id_x 1
		.amdhsa_system_sgpr_workgroup_id_y 1
		.amdhsa_system_sgpr_workgroup_id_z 0
		.amdhsa_system_sgpr_workgroup_info 0
		.amdhsa_system_vgpr_workitem_id 1
		.amdhsa_next_free_vgpr 20
		.amdhsa_next_free_sgpr 11
		.amdhsa_reserve_vcc 1
		.amdhsa_reserve_flat_scratch 0
		.amdhsa_float_round_mode_32 0
		.amdhsa_float_round_mode_16_64 0
		.amdhsa_float_denorm_mode_32 3
		.amdhsa_float_denorm_mode_16_64 3
		.amdhsa_dx10_clamp 1
		.amdhsa_ieee_mode 1
		.amdhsa_fp16_overflow 0
		.amdhsa_workgroup_processor_mode 1
		.amdhsa_memory_ordered 1
		.amdhsa_forward_progress 1
		.amdhsa_shared_vgpr_count 0
		.amdhsa_exception_fp_ieee_invalid_op 0
		.amdhsa_exception_fp_denorm_src 0
		.amdhsa_exception_fp_ieee_div_zero 0
		.amdhsa_exception_fp_ieee_overflow 0
		.amdhsa_exception_fp_ieee_underflow 0
		.amdhsa_exception_fp_ieee_inexact 0
		.amdhsa_exception_int_div_zero 0
	.end_amdhsa_kernel
	.section	.text._Z9minkowskiILi512ELi1024ELi2048EEvPKfS1_Pfff,"axG",@progbits,_Z9minkowskiILi512ELi1024ELi2048EEvPKfS1_Pfff,comdat
.Lfunc_end0:
	.size	_Z9minkowskiILi512ELi1024ELi2048EEvPKfS1_Pfff, .Lfunc_end0-_Z9minkowskiILi512ELi1024ELi2048EEvPKfS1_Pfff
                                        ; -- End function
	.set _Z9minkowskiILi512ELi1024ELi2048EEvPKfS1_Pfff.num_vgpr, 20
	.set _Z9minkowskiILi512ELi1024ELi2048EEvPKfS1_Pfff.num_agpr, 0
	.set _Z9minkowskiILi512ELi1024ELi2048EEvPKfS1_Pfff.numbered_sgpr, 11
	.set _Z9minkowskiILi512ELi1024ELi2048EEvPKfS1_Pfff.num_named_barrier, 0
	.set _Z9minkowskiILi512ELi1024ELi2048EEvPKfS1_Pfff.private_seg_size, 0
	.set _Z9minkowskiILi512ELi1024ELi2048EEvPKfS1_Pfff.uses_vcc, 1
	.set _Z9minkowskiILi512ELi1024ELi2048EEvPKfS1_Pfff.uses_flat_scratch, 0
	.set _Z9minkowskiILi512ELi1024ELi2048EEvPKfS1_Pfff.has_dyn_sized_stack, 0
	.set _Z9minkowskiILi512ELi1024ELi2048EEvPKfS1_Pfff.has_recursion, 0
	.set _Z9minkowskiILi512ELi1024ELi2048EEvPKfS1_Pfff.has_indirect_call, 0
	.section	.AMDGPU.csdata,"",@progbits
; Kernel info:
; codeLenInByte = 2052
; TotalNumSgprs: 13
; NumVgprs: 20
; ScratchSize: 0
; MemoryBound: 0
; FloatMode: 240
; IeeeMode: 1
; LDSByteSize: 0 bytes/workgroup (compile time only)
; SGPRBlocks: 0
; VGPRBlocks: 2
; NumSGPRsForWavesPerEU: 13
; NumVGPRsForWavesPerEU: 20
; Occupancy: 16
; WaveLimiterHint : 0
; COMPUTE_PGM_RSRC2:SCRATCH_EN: 0
; COMPUTE_PGM_RSRC2:USER_SGPR: 6
; COMPUTE_PGM_RSRC2:TRAP_HANDLER: 0
; COMPUTE_PGM_RSRC2:TGID_X_EN: 1
; COMPUTE_PGM_RSRC2:TGID_Y_EN: 1
; COMPUTE_PGM_RSRC2:TGID_Z_EN: 0
; COMPUTE_PGM_RSRC2:TIDIG_COMP_CNT: 1
	.section	.AMDGPU.gpr_maximums,"",@progbits
	.set amdgpu.max_num_vgpr, 0
	.set amdgpu.max_num_agpr, 0
	.set amdgpu.max_num_sgpr, 0
	.section	.AMDGPU.csdata,"",@progbits
	.type	__hip_cuid_c6f0b5ce28bdaacf,@object ; @__hip_cuid_c6f0b5ce28bdaacf
	.section	.bss,"aw",@nobits
	.globl	__hip_cuid_c6f0b5ce28bdaacf
__hip_cuid_c6f0b5ce28bdaacf:
	.byte	0                               ; 0x0
	.size	__hip_cuid_c6f0b5ce28bdaacf, 1

	.ident	"AMD clang version 22.0.0git (https://github.com/RadeonOpenCompute/llvm-project roc-7.2.4 26084 f58b06dce1f9c15707c5f808fd002e18c2accf7e)"
	.section	".note.GNU-stack","",@progbits
	.addrsig
	.addrsig_sym __hip_cuid_c6f0b5ce28bdaacf
	.amdgpu_metadata
---
amdhsa.kernels:
  - .args:
      - .actual_access:  read_only
        .address_space:  global
        .offset:         0
        .size:           8
        .value_kind:     global_buffer
      - .actual_access:  read_only
        .address_space:  global
        .offset:         8
        .size:           8
        .value_kind:     global_buffer
      - .actual_access:  write_only
        .address_space:  global
        .offset:         16
        .size:           8
        .value_kind:     global_buffer
      - .offset:         24
        .size:           4
        .value_kind:     by_value
      - .offset:         28
        .size:           4
        .value_kind:     by_value
      - .offset:         32
        .size:           4
        .value_kind:     hidden_block_count_x
      - .offset:         36
        .size:           4
        .value_kind:     hidden_block_count_y
      - .offset:         40
        .size:           4
        .value_kind:     hidden_block_count_z
      - .offset:         44
        .size:           2
        .value_kind:     hidden_group_size_x
      - .offset:         46
        .size:           2
        .value_kind:     hidden_group_size_y
      - .offset:         48
        .size:           2
        .value_kind:     hidden_group_size_z
      - .offset:         50
        .size:           2
        .value_kind:     hidden_remainder_x
      - .offset:         52
        .size:           2
        .value_kind:     hidden_remainder_y
      - .offset:         54
        .size:           2
        .value_kind:     hidden_remainder_z
      - .offset:         72
        .size:           8
        .value_kind:     hidden_global_offset_x
      - .offset:         80
        .size:           8
        .value_kind:     hidden_global_offset_y
      - .offset:         88
        .size:           8
        .value_kind:     hidden_global_offset_z
      - .offset:         96
        .size:           2
        .value_kind:     hidden_grid_dims
    .group_segment_fixed_size: 0
    .kernarg_segment_align: 8
    .kernarg_segment_size: 288
    .language:       OpenCL C
    .language_version:
      - 2
      - 0
    .max_flat_workgroup_size: 1024
    .name:           _Z9minkowskiILi512ELi1024ELi2048EEvPKfS1_Pfff
    .private_segment_fixed_size: 0
    .sgpr_count:     13
    .sgpr_spill_count: 0
    .symbol:         _Z9minkowskiILi512ELi1024ELi2048EEvPKfS1_Pfff.kd
    .uniform_work_group_size: 1
    .uses_dynamic_stack: false
    .vgpr_count:     20
    .vgpr_spill_count: 0
    .wavefront_size: 32
    .workgroup_processor_mode: 1
amdhsa.target:   amdgcn-amd-amdhsa--gfx1030
amdhsa.version:
  - 1
  - 2
...

	.end_amdgpu_metadata
